;; amdgpu-corpus repo=ROCm/rocFFT kind=compiled arch=gfx1201 opt=O3
	.text
	.amdgcn_target "amdgcn-amd-amdhsa--gfx1201"
	.amdhsa_code_object_version 6
	.protected	fft_rtc_fwd_len1485_factors_3_5_11_3_3_wgs_165_tpt_165_half_op_CI_CI_unitstride_sbrr_dirReg ; -- Begin function fft_rtc_fwd_len1485_factors_3_5_11_3_3_wgs_165_tpt_165_half_op_CI_CI_unitstride_sbrr_dirReg
	.globl	fft_rtc_fwd_len1485_factors_3_5_11_3_3_wgs_165_tpt_165_half_op_CI_CI_unitstride_sbrr_dirReg
	.p2align	8
	.type	fft_rtc_fwd_len1485_factors_3_5_11_3_3_wgs_165_tpt_165_half_op_CI_CI_unitstride_sbrr_dirReg,@function
fft_rtc_fwd_len1485_factors_3_5_11_3_3_wgs_165_tpt_165_half_op_CI_CI_unitstride_sbrr_dirReg: ; @fft_rtc_fwd_len1485_factors_3_5_11_3_3_wgs_165_tpt_165_half_op_CI_CI_unitstride_sbrr_dirReg
; %bb.0:
	s_clause 0x2
	s_load_b128 s[8:11], s[0:1], 0x0
	s_load_b128 s[4:7], s[0:1], 0x58
	;; [unrolled: 1-line block ×3, first 2 shown]
	v_mul_u32_u24_e32 v1, 0x18e, v0
	v_mov_b32_e32 v7, 0
	v_mov_b32_e32 v5, 0
	;; [unrolled: 1-line block ×3, first 2 shown]
	s_delay_alu instid0(VALU_DEP_4) | instskip(NEXT) | instid1(VALU_DEP_1)
	v_lshrrev_b32_e32 v1, 16, v1
	v_dual_mov_b32 v10, v7 :: v_dual_add_nc_u32 v9, ttmp9, v1
	s_wait_kmcnt 0x0
	v_cmp_lt_u64_e64 s2, s[10:11], 2
	s_delay_alu instid0(VALU_DEP_1)
	s_and_b32 vcc_lo, exec_lo, s2
	s_cbranch_vccnz .LBB0_8
; %bb.1:
	s_load_b64 s[2:3], s[0:1], 0x10
	v_mov_b32_e32 v5, 0
	v_mov_b32_e32 v6, 0
	s_delay_alu instid0(VALU_DEP_2)
	v_mov_b32_e32 v1, v5
	s_add_nc_u64 s[16:17], s[14:15], 8
	s_add_nc_u64 s[18:19], s[12:13], 8
	s_mov_b64 s[20:21], 1
	v_mov_b32_e32 v2, v6
	s_wait_kmcnt 0x0
	s_add_nc_u64 s[22:23], s[2:3], 8
	s_mov_b32 s3, 0
.LBB0_2:                                ; =>This Inner Loop Header: Depth=1
	s_load_b64 s[24:25], s[22:23], 0x0
                                        ; implicit-def: $vgpr3_vgpr4
	s_mov_b32 s2, exec_lo
	s_wait_kmcnt 0x0
	v_or_b32_e32 v8, s25, v10
	s_delay_alu instid0(VALU_DEP_1)
	v_cmpx_ne_u64_e32 0, v[7:8]
	s_wait_alu 0xfffe
	s_xor_b32 s26, exec_lo, s2
	s_cbranch_execz .LBB0_4
; %bb.3:                                ;   in Loop: Header=BB0_2 Depth=1
	s_cvt_f32_u32 s2, s24
	s_cvt_f32_u32 s27, s25
	s_sub_nc_u64 s[30:31], 0, s[24:25]
	s_wait_alu 0xfffe
	s_delay_alu instid0(SALU_CYCLE_1) | instskip(SKIP_1) | instid1(SALU_CYCLE_2)
	s_fmamk_f32 s2, s27, 0x4f800000, s2
	s_wait_alu 0xfffe
	v_s_rcp_f32 s2, s2
	s_delay_alu instid0(TRANS32_DEP_1) | instskip(SKIP_1) | instid1(SALU_CYCLE_2)
	s_mul_f32 s2, s2, 0x5f7ffffc
	s_wait_alu 0xfffe
	s_mul_f32 s27, s2, 0x2f800000
	s_wait_alu 0xfffe
	s_delay_alu instid0(SALU_CYCLE_2) | instskip(SKIP_1) | instid1(SALU_CYCLE_2)
	s_trunc_f32 s27, s27
	s_wait_alu 0xfffe
	s_fmamk_f32 s2, s27, 0xcf800000, s2
	s_cvt_u32_f32 s29, s27
	s_wait_alu 0xfffe
	s_delay_alu instid0(SALU_CYCLE_1) | instskip(SKIP_1) | instid1(SALU_CYCLE_2)
	s_cvt_u32_f32 s28, s2
	s_wait_alu 0xfffe
	s_mul_u64 s[34:35], s[30:31], s[28:29]
	s_wait_alu 0xfffe
	s_mul_hi_u32 s37, s28, s35
	s_mul_i32 s36, s28, s35
	s_mul_hi_u32 s2, s28, s34
	s_mul_i32 s33, s29, s34
	s_wait_alu 0xfffe
	s_add_nc_u64 s[36:37], s[2:3], s[36:37]
	s_mul_hi_u32 s27, s29, s34
	s_mul_hi_u32 s38, s29, s35
	s_add_co_u32 s2, s36, s33
	s_wait_alu 0xfffe
	s_add_co_ci_u32 s2, s37, s27
	s_mul_i32 s34, s29, s35
	s_add_co_ci_u32 s35, s38, 0
	s_wait_alu 0xfffe
	s_add_nc_u64 s[34:35], s[2:3], s[34:35]
	s_wait_alu 0xfffe
	v_add_co_u32 v3, s2, s28, s34
	s_delay_alu instid0(VALU_DEP_1) | instskip(SKIP_1) | instid1(VALU_DEP_1)
	s_cmp_lg_u32 s2, 0
	s_add_co_ci_u32 s29, s29, s35
	v_readfirstlane_b32 s28, v3
	s_wait_alu 0xfffe
	s_delay_alu instid0(VALU_DEP_1)
	s_mul_u64 s[30:31], s[30:31], s[28:29]
	s_wait_alu 0xfffe
	s_mul_hi_u32 s35, s28, s31
	s_mul_i32 s34, s28, s31
	s_mul_hi_u32 s2, s28, s30
	s_mul_i32 s33, s29, s30
	s_wait_alu 0xfffe
	s_add_nc_u64 s[34:35], s[2:3], s[34:35]
	s_mul_hi_u32 s27, s29, s30
	s_mul_hi_u32 s28, s29, s31
	s_wait_alu 0xfffe
	s_add_co_u32 s2, s34, s33
	s_add_co_ci_u32 s2, s35, s27
	s_mul_i32 s30, s29, s31
	s_add_co_ci_u32 s31, s28, 0
	s_wait_alu 0xfffe
	s_add_nc_u64 s[30:31], s[2:3], s[30:31]
	s_wait_alu 0xfffe
	v_add_co_u32 v8, s2, v3, s30
	s_delay_alu instid0(VALU_DEP_1) | instskip(SKIP_1) | instid1(VALU_DEP_1)
	s_cmp_lg_u32 s2, 0
	s_add_co_ci_u32 s2, s29, s31
	v_mul_hi_u32 v15, v9, v8
	s_wait_alu 0xfffe
	v_mad_co_u64_u32 v[3:4], null, v9, s2, 0
	v_mad_co_u64_u32 v[11:12], null, v10, v8, 0
	;; [unrolled: 1-line block ×3, first 2 shown]
	s_delay_alu instid0(VALU_DEP_3) | instskip(SKIP_1) | instid1(VALU_DEP_4)
	v_add_co_u32 v3, vcc_lo, v15, v3
	s_wait_alu 0xfffd
	v_add_co_ci_u32_e32 v4, vcc_lo, 0, v4, vcc_lo
	s_delay_alu instid0(VALU_DEP_2) | instskip(SKIP_1) | instid1(VALU_DEP_2)
	v_add_co_u32 v3, vcc_lo, v3, v11
	s_wait_alu 0xfffd
	v_add_co_ci_u32_e32 v3, vcc_lo, v4, v12, vcc_lo
	s_wait_alu 0xfffd
	v_add_co_ci_u32_e32 v4, vcc_lo, 0, v14, vcc_lo
	s_delay_alu instid0(VALU_DEP_2) | instskip(SKIP_1) | instid1(VALU_DEP_2)
	v_add_co_u32 v8, vcc_lo, v3, v13
	s_wait_alu 0xfffd
	v_add_co_ci_u32_e32 v11, vcc_lo, 0, v4, vcc_lo
	s_delay_alu instid0(VALU_DEP_2) | instskip(SKIP_1) | instid1(VALU_DEP_3)
	v_mul_lo_u32 v12, s25, v8
	v_mad_co_u64_u32 v[3:4], null, s24, v8, 0
	v_mul_lo_u32 v13, s24, v11
	s_delay_alu instid0(VALU_DEP_2) | instskip(NEXT) | instid1(VALU_DEP_2)
	v_sub_co_u32 v3, vcc_lo, v9, v3
	v_add3_u32 v4, v4, v13, v12
	s_delay_alu instid0(VALU_DEP_1) | instskip(SKIP_1) | instid1(VALU_DEP_1)
	v_sub_nc_u32_e32 v12, v10, v4
	s_wait_alu 0xfffd
	v_subrev_co_ci_u32_e64 v12, s2, s25, v12, vcc_lo
	v_add_co_u32 v13, s2, v8, 2
	s_wait_alu 0xf1ff
	v_add_co_ci_u32_e64 v14, s2, 0, v11, s2
	v_sub_co_u32 v15, s2, v3, s24
	v_sub_co_ci_u32_e32 v4, vcc_lo, v10, v4, vcc_lo
	s_wait_alu 0xf1ff
	v_subrev_co_ci_u32_e64 v12, s2, 0, v12, s2
	s_delay_alu instid0(VALU_DEP_3) | instskip(NEXT) | instid1(VALU_DEP_3)
	v_cmp_le_u32_e32 vcc_lo, s24, v15
	v_cmp_eq_u32_e64 s2, s25, v4
	s_wait_alu 0xfffd
	v_cndmask_b32_e64 v15, 0, -1, vcc_lo
	v_cmp_le_u32_e32 vcc_lo, s25, v12
	s_wait_alu 0xfffd
	v_cndmask_b32_e64 v16, 0, -1, vcc_lo
	v_cmp_le_u32_e32 vcc_lo, s24, v3
	;; [unrolled: 3-line block ×3, first 2 shown]
	s_wait_alu 0xfffd
	v_cndmask_b32_e64 v17, 0, -1, vcc_lo
	v_cmp_eq_u32_e32 vcc_lo, s25, v12
	s_wait_alu 0xf1ff
	s_delay_alu instid0(VALU_DEP_2)
	v_cndmask_b32_e64 v3, v17, v3, s2
	s_wait_alu 0xfffd
	v_cndmask_b32_e32 v12, v16, v15, vcc_lo
	v_add_co_u32 v15, vcc_lo, v8, 1
	s_wait_alu 0xfffd
	v_add_co_ci_u32_e32 v16, vcc_lo, 0, v11, vcc_lo
	s_delay_alu instid0(VALU_DEP_3) | instskip(SKIP_1) | instid1(VALU_DEP_2)
	v_cmp_ne_u32_e32 vcc_lo, 0, v12
	s_wait_alu 0xfffd
	v_cndmask_b32_e32 v4, v16, v14, vcc_lo
	v_cndmask_b32_e32 v12, v15, v13, vcc_lo
	v_cmp_ne_u32_e32 vcc_lo, 0, v3
	s_wait_alu 0xfffd
	s_delay_alu instid0(VALU_DEP_3) | instskip(NEXT) | instid1(VALU_DEP_3)
	v_cndmask_b32_e32 v4, v11, v4, vcc_lo
	v_cndmask_b32_e32 v3, v8, v12, vcc_lo
.LBB0_4:                                ;   in Loop: Header=BB0_2 Depth=1
	s_wait_alu 0xfffe
	s_and_not1_saveexec_b32 s2, s26
	s_cbranch_execz .LBB0_6
; %bb.5:                                ;   in Loop: Header=BB0_2 Depth=1
	v_cvt_f32_u32_e32 v3, s24
	s_sub_co_i32 s26, 0, s24
	s_delay_alu instid0(VALU_DEP_1) | instskip(NEXT) | instid1(TRANS32_DEP_1)
	v_rcp_iflag_f32_e32 v3, v3
	v_mul_f32_e32 v3, 0x4f7ffffe, v3
	s_delay_alu instid0(VALU_DEP_1) | instskip(SKIP_1) | instid1(VALU_DEP_1)
	v_cvt_u32_f32_e32 v3, v3
	s_wait_alu 0xfffe
	v_mul_lo_u32 v4, s26, v3
	s_delay_alu instid0(VALU_DEP_1) | instskip(NEXT) | instid1(VALU_DEP_1)
	v_mul_hi_u32 v4, v3, v4
	v_add_nc_u32_e32 v3, v3, v4
	s_delay_alu instid0(VALU_DEP_1) | instskip(NEXT) | instid1(VALU_DEP_1)
	v_mul_hi_u32 v3, v9, v3
	v_mul_lo_u32 v4, v3, s24
	v_add_nc_u32_e32 v8, 1, v3
	s_delay_alu instid0(VALU_DEP_2) | instskip(NEXT) | instid1(VALU_DEP_1)
	v_sub_nc_u32_e32 v4, v9, v4
	v_subrev_nc_u32_e32 v11, s24, v4
	v_cmp_le_u32_e32 vcc_lo, s24, v4
	s_wait_alu 0xfffd
	s_delay_alu instid0(VALU_DEP_2) | instskip(NEXT) | instid1(VALU_DEP_1)
	v_dual_cndmask_b32 v4, v4, v11 :: v_dual_cndmask_b32 v3, v3, v8
	v_cmp_le_u32_e32 vcc_lo, s24, v4
	s_delay_alu instid0(VALU_DEP_2) | instskip(SKIP_2) | instid1(VALU_DEP_2)
	v_add_nc_u32_e32 v8, 1, v3
	v_mov_b32_e32 v4, v7
	s_wait_alu 0xfffd
	v_cndmask_b32_e32 v3, v3, v8, vcc_lo
.LBB0_6:                                ;   in Loop: Header=BB0_2 Depth=1
	s_wait_alu 0xfffe
	s_or_b32 exec_lo, exec_lo, s2
	v_mul_lo_u32 v8, v4, s24
	s_delay_alu instid0(VALU_DEP_2)
	v_mul_lo_u32 v13, v3, s25
	s_load_b64 s[26:27], s[18:19], 0x0
	v_mad_co_u64_u32 v[11:12], null, v3, s24, 0
	s_load_b64 s[24:25], s[16:17], 0x0
	s_add_nc_u64 s[20:21], s[20:21], 1
	s_add_nc_u64 s[16:17], s[16:17], 8
	s_wait_alu 0xfffe
	v_cmp_ge_u64_e64 s2, s[20:21], s[10:11]
	s_add_nc_u64 s[18:19], s[18:19], 8
	s_add_nc_u64 s[22:23], s[22:23], 8
	v_add3_u32 v8, v12, v13, v8
	v_sub_co_u32 v9, vcc_lo, v9, v11
	s_wait_alu 0xfffd
	s_delay_alu instid0(VALU_DEP_2) | instskip(SKIP_2) | instid1(VALU_DEP_1)
	v_sub_co_ci_u32_e32 v8, vcc_lo, v10, v8, vcc_lo
	s_and_b32 vcc_lo, exec_lo, s2
	s_wait_kmcnt 0x0
	v_mul_lo_u32 v10, s26, v8
	v_mul_lo_u32 v11, s27, v9
	v_mad_co_u64_u32 v[5:6], null, s26, v9, v[5:6]
	v_mul_lo_u32 v8, s24, v8
	v_mul_lo_u32 v12, s25, v9
	v_mad_co_u64_u32 v[1:2], null, s24, v9, v[1:2]
	s_delay_alu instid0(VALU_DEP_4) | instskip(NEXT) | instid1(VALU_DEP_2)
	v_add3_u32 v6, v11, v6, v10
	v_add3_u32 v2, v12, v2, v8
	s_wait_alu 0xfffe
	s_cbranch_vccnz .LBB0_9
; %bb.7:                                ;   in Loop: Header=BB0_2 Depth=1
	v_dual_mov_b32 v10, v4 :: v_dual_mov_b32 v9, v3
	s_branch .LBB0_2
.LBB0_8:
	v_dual_mov_b32 v1, v5 :: v_dual_mov_b32 v2, v6
	v_dual_mov_b32 v3, v9 :: v_dual_mov_b32 v4, v10
.LBB0_9:
	s_load_b64 s[0:1], s[0:1], 0x28
	v_mul_hi_u32 v13, 0x18d3019, v0
	s_lshl_b64 s[10:11], s[10:11], 3
                                        ; implicit-def: $vgpr15
	s_wait_kmcnt 0x0
	v_cmp_gt_u64_e32 vcc_lo, s[0:1], v[3:4]
	v_cmp_le_u64_e64 s0, s[0:1], v[3:4]
	s_delay_alu instid0(VALU_DEP_1)
	s_and_saveexec_b32 s1, s0
	s_wait_alu 0xfffe
	s_xor_b32 s0, exec_lo, s1
; %bb.10:
	v_mul_u32_u24_e32 v5, 0xa5, v13
                                        ; implicit-def: $vgpr13
	s_delay_alu instid0(VALU_DEP_1)
	v_sub_nc_u32_e32 v15, v0, v5
                                        ; implicit-def: $vgpr0
                                        ; implicit-def: $vgpr5_vgpr6
; %bb.11:
	s_wait_alu 0xfffe
	s_or_saveexec_b32 s1, s0
	s_add_nc_u64 s[2:3], s[14:15], s[10:11]
                                        ; implicit-def: $vgpr14
                                        ; implicit-def: $vgpr17
                                        ; implicit-def: $vgpr16
                                        ; implicit-def: $vgpr7
                                        ; implicit-def: $vgpr12
                                        ; implicit-def: $vgpr8
                                        ; implicit-def: $vgpr9
                                        ; implicit-def: $vgpr11
                                        ; implicit-def: $vgpr10
	s_wait_alu 0xfffe
	s_xor_b32 exec_lo, exec_lo, s1
	s_cbranch_execz .LBB0_13
; %bb.12:
	s_add_nc_u64 s[10:11], s[12:13], s[10:11]
	v_lshlrev_b64_e32 v[5:6], 2, v[5:6]
	s_load_b64 s[10:11], s[10:11], 0x0
	s_wait_kmcnt 0x0
	v_mul_lo_u32 v9, s11, v3
	v_mul_lo_u32 v10, s10, v4
	v_mad_co_u64_u32 v[7:8], null, s10, v3, 0
	s_delay_alu instid0(VALU_DEP_1) | instskip(SKIP_1) | instid1(VALU_DEP_2)
	v_add3_u32 v8, v8, v10, v9
	v_mul_u32_u24_e32 v9, 0xa5, v13
	v_lshlrev_b64_e32 v[7:8], 2, v[7:8]
	s_delay_alu instid0(VALU_DEP_2) | instskip(NEXT) | instid1(VALU_DEP_2)
	v_sub_nc_u32_e32 v15, v0, v9
	v_add_co_u32 v0, s0, s4, v7
	s_wait_alu 0xf1ff
	s_delay_alu instid0(VALU_DEP_3) | instskip(NEXT) | instid1(VALU_DEP_3)
	v_add_co_ci_u32_e64 v7, s0, s5, v8, s0
	v_lshlrev_b32_e32 v8, 2, v15
	s_delay_alu instid0(VALU_DEP_3) | instskip(SKIP_1) | instid1(VALU_DEP_3)
	v_add_co_u32 v0, s0, v0, v5
	s_wait_alu 0xf1ff
	v_add_co_ci_u32_e64 v6, s0, v7, v6, s0
	s_delay_alu instid0(VALU_DEP_2) | instskip(SKIP_1) | instid1(VALU_DEP_2)
	v_add_co_u32 v5, s0, v0, v8
	s_wait_alu 0xf1ff
	v_add_co_ci_u32_e64 v6, s0, 0, v6, s0
	s_clause 0x8
	global_load_b32 v14, v[5:6], off
	global_load_b32 v7, v[5:6], off offset:660
	global_load_b32 v12, v[5:6], off offset:2640
	global_load_b32 v8, v[5:6], off offset:4620
	global_load_b32 v16, v[5:6], off offset:3960
	global_load_b32 v11, v[5:6], off offset:3300
	global_load_b32 v17, v[5:6], off offset:1980
	global_load_b32 v10, v[5:6], off offset:1320
	global_load_b32 v9, v[5:6], off offset:5280
.LBB0_13:
	s_or_b32 exec_lo, exec_lo, s1
	s_wait_loadcnt 0x2
	v_pk_add_f16 v5, v17, v16
	v_pk_add_f16 v0, v14, v17
	;; [unrolled: 1-line block ×3, first 2 shown]
	s_wait_loadcnt 0x1
	v_pk_add_f16 v18, v11, v10
	v_pk_add_f16 v6, v17, v16 neg_lo:[0,1] neg_hi:[0,1]
	v_pk_fma_f16 v5, v5, 0.5, v14 op_sel_hi:[1,0,1] neg_lo:[1,0,0] neg_hi:[1,0,0]
	v_pk_add_f16 v14, v12, v8
	v_pk_add_f16 v12, v12, v8 neg_lo:[0,1] neg_hi:[0,1]
	v_pk_add_f16 v0, v0, v16
	s_wait_loadcnt 0x0
	v_pk_add_f16 v16, v9, v11
	v_pk_add_f16 v11, v11, v9 neg_lo:[0,1] neg_hi:[0,1]
	v_pk_fma_f16 v14, v14, 0.5, v7 op_sel_hi:[1,0,1] neg_lo:[1,0,0] neg_hi:[1,0,0]
	v_pk_mul_f16 v12, 0x3aee, v12 op_sel_hi:[0,1]
	v_pk_mul_f16 v6, 0x3aee, v6 op_sel_hi:[0,1]
	v_pk_fma_f16 v10, v16, 0.5, v10 op_sel_hi:[1,0,1] neg_lo:[1,0,0] neg_hi:[1,0,0]
	v_pk_mul_f16 v11, 0x3aee, v11 op_sel_hi:[0,1]
	v_mad_u32_u24 v19, v15, 12, 0
	v_pk_add_f16 v7, v14, v12 op_sel:[0,1] op_sel_hi:[1,0] neg_lo:[0,1] neg_hi:[0,1]
	v_pk_add_f16 v14, v14, v12 op_sel:[0,1] op_sel_hi:[1,0]
	v_pk_add_f16 v17, v5, v6 op_sel:[0,1] op_sel_hi:[1,0]
	v_pk_add_f16 v16, v5, v6 op_sel:[0,1] op_sel_hi:[1,0] neg_lo:[0,1] neg_hi:[0,1]
	v_pk_add_f16 v5, v10, v11 op_sel:[0,1] op_sel_hi:[1,0] neg_lo:[0,1] neg_hi:[0,1]
	v_pk_add_f16 v6, v10, v11 op_sel:[0,1] op_sel_hi:[1,0]
	v_add_nc_u32_e32 v12, 0x7bc, v19
	v_pk_add_f16 v10, v13, v8
	v_bfi_b32 v11, 0xffff, v14, v7
	v_add_nc_u32_e32 v13, 0xf78, v19
	v_pk_add_f16 v8, v9, v18
	v_bfi_b32 v9, 0xffff, v6, v5
	v_bfi_b32 v18, 0xffff, v17, v16
	v_lshlrev_b32_e32 v20, 3, v15
	v_bfi_b32 v16, 0xffff, v16, v17
	v_bfi_b32 v17, 0xffff, v7, v14
	s_load_b64 s[2:3], s[2:3], 0x0
	ds_store_2addr_b32 v12, v10, v11 offset1:1
	ds_store_2addr_b32 v13, v8, v9 offset1:1
	v_bfi_b32 v9, 0xffff, v5, v6
	ds_store_2addr_b32 v19, v0, v18 offset1:1
	ds_store_b32 v19, v16 offset:8
	ds_store_b32 v19, v17 offset:1988
	;; [unrolled: 1-line block ×3, first 2 shown]
	v_sub_nc_u32_e32 v0, v19, v20
	global_wb scope:SCOPE_SE
	s_wait_dscnt 0x0
	s_wait_kmcnt 0x0
	s_barrier_signal -1
	s_barrier_wait -1
	global_inv scope:SCOPE_SE
	ds_load_b32 v10, v0
	ds_load_b32 v13, v0 offset:1188
	ds_load_b32 v12, v0 offset:2376
	;; [unrolled: 1-line block ×4, first 2 shown]
	v_sub_nc_u32_e32 v0, 0, v20
	v_lshrrev_b32_e32 v18, 16, v14
	v_lshrrev_b32_e32 v22, 16, v6
	;; [unrolled: 1-line block ×3, first 2 shown]
	v_cmp_gt_u32_e64 s0, 0x84, v15
	v_lshrrev_b32_e32 v24, 16, v5
	v_add_nc_u32_e32 v0, v19, v0
                                        ; implicit-def: $vgpr17
                                        ; implicit-def: $vgpr14
	s_delay_alu instid0(VALU_DEP_3)
	s_and_saveexec_b32 s1, s0
	s_cbranch_execz .LBB0_15
; %bb.14:
	ds_load_b32 v7, v0 offset:660
	ds_load_b32 v14, v0 offset:5412
	;; [unrolled: 1-line block ×5, first 2 shown]
	s_wait_dscnt 0x4
	v_lshrrev_b32_e32 v18, 16, v7
	s_wait_dscnt 0x3
	v_lshrrev_b32_e32 v17, 16, v14
	;; [unrolled: 2-line block ×5, first 2 shown]
.LBB0_15:
	s_wait_alu 0xfffe
	s_or_b32 exec_lo, exec_lo, s1
	v_and_b32_e32 v21, 0xff, v15
	v_add_nc_u32_e32 v16, 0xa5, v15
	s_wait_dscnt 0x3
	v_lshrrev_b32_e32 v36, 16, v13
	s_wait_dscnt 0x2
	v_lshrrev_b32_e32 v37, 16, v12
	;; [unrolled: 2-line block ×3, first 2 shown]
	v_mul_lo_u16 v19, 0xab, v21
	v_and_b32_e32 v23, 0xffff, v16
	s_wait_dscnt 0x0
	v_lshrrev_b32_e32 v39, 16, v9
	s_delay_alu instid0(VALU_DEP_3) | instskip(NEXT) | instid1(VALU_DEP_3)
	v_lshrrev_b16 v19, 9, v19
	v_mul_u32_u24_e32 v23, 0xaaab, v23
	s_delay_alu instid0(VALU_DEP_2) | instskip(NEXT) | instid1(VALU_DEP_2)
	v_mul_lo_u16 v25, v19, 3
	v_lshrrev_b32_e32 v23, 17, v23
	v_and_b32_e32 v35, 0xffff, v19
	v_lshrrev_b32_e32 v19, 16, v10
	s_delay_alu instid0(VALU_DEP_4) | instskip(NEXT) | instid1(VALU_DEP_4)
	v_sub_nc_u16 v25, v15, v25
	v_mul_lo_u16 v26, v23, 3
	s_delay_alu instid0(VALU_DEP_4) | instskip(NEXT) | instid1(VALU_DEP_3)
	v_mul_u32_u24_e32 v35, 60, v35
	v_and_b32_e32 v25, 0xff, v25
	s_delay_alu instid0(VALU_DEP_3) | instskip(NEXT) | instid1(VALU_DEP_2)
	v_sub_nc_u16 v26, v16, v26
	v_lshlrev_b32_e32 v27, 4, v25
	s_delay_alu instid0(VALU_DEP_2)
	v_and_b32_e32 v26, 0xffff, v26
	v_lshlrev_b32_e32 v25, 2, v25
	global_load_b128 v[27:30], v27, s[8:9]
	v_lshlrev_b32_e32 v31, 4, v26
	v_add3_u32 v35, 0, v35, v25
	global_load_b128 v[31:34], v31, s[8:9]
	global_wb scope:SCOPE_SE
	s_wait_loadcnt 0x0
	s_barrier_signal -1
	s_barrier_wait -1
	global_inv scope:SCOPE_SE
	v_lshrrev_b32_e32 v25, 16, v27
	v_lshrrev_b32_e32 v40, 16, v28
	;; [unrolled: 1-line block ×4, first 2 shown]
	s_delay_alu instid0(VALU_DEP_4)
	v_mul_f16_e32 v43, v25, v36
	v_mul_f16_e32 v25, v25, v13
	;; [unrolled: 1-line block ×8, first 2 shown]
	v_lshrrev_b32_e32 v47, 16, v31
	v_lshrrev_b32_e32 v48, 16, v32
	v_lshrrev_b32_e32 v49, 16, v33
	v_lshrrev_b32_e32 v50, 16, v34
	v_fma_f16 v13, v27, v13, -v43
	v_fmac_f16_e32 v25, v27, v36
	v_fma_f16 v12, v28, v12, -v44
	v_fmac_f16_e32 v40, v28, v37
	;; [unrolled: 2-line block ×4, first 2 shown]
	v_mul_f16_e32 v9, v20, v47
	v_mul_f16_e32 v29, v8, v47
	;; [unrolled: 1-line block ×8, first 2 shown]
	v_fma_f16 v8, v8, v31, -v9
	v_fmac_f16_e32 v29, v20, v31
	v_fma_f16 v31, v6, v32, -v11
	v_fmac_f16_e32 v30, v24, v32
	;; [unrolled: 2-line block ×4, first 2 shown]
	v_add_f16_e32 v5, v10, v13
	v_add_f16_e32 v6, v12, v27
	v_sub_f16_e32 v14, v25, v42
	v_sub_f16_e32 v9, v13, v12
	;; [unrolled: 1-line block ×3, first 2 shown]
	v_add_f16_e32 v22, v13, v28
	v_add_f16_e32 v36, v19, v25
	;; [unrolled: 1-line block ×3, first 2 shown]
	v_sub_f16_e32 v44, v25, v40
	v_add_f16_e32 v46, v25, v42
	v_sub_f16_e32 v25, v40, v25
	v_sub_f16_e32 v47, v41, v42
	;; [unrolled: 1-line block ×8, first 2 shown]
	v_add_f16_e32 v5, v5, v12
	v_fma_f16 v11, -0.5, v6, v10
	v_add_f16_e32 v12, v9, v20
	v_fmac_f16_e32 v10, -0.5, v22
	v_add_f16_e32 v22, v36, v40
	v_fma_f16 v20, -0.5, v38, v19
	v_fmac_f16_e32 v19, -0.5, v46
	v_add_f16_e32 v38, v25, v47
	v_add_f16_e32 v25, v7, v8
	;; [unrolled: 1-line block ×8, first 2 shown]
	v_sub_f16_e32 v44, v29, v39
	v_sub_f16_e32 v45, v30, v37
	;; [unrolled: 1-line block ×5, first 2 shown]
	v_add_f16_e32 v51, v18, v29
	v_sub_f16_e32 v53, v8, v33
	v_sub_f16_e32 v54, v31, v32
	;; [unrolled: 1-line block ×5, first 2 shown]
	v_add_f16_e32 v5, v5, v27
	v_fmamk_f16 v6, v14, 0x3b9c, v11
	v_fmac_f16_e32 v11, 0xbb9c, v14
	v_fmamk_f16 v9, v17, 0xbb9c, v10
	v_fmac_f16_e32 v10, 0x3b9c, v17
	v_add_f16_e32 v27, v22, v41
	v_fmamk_f16 v22, v13, 0xbb9c, v20
	v_fmamk_f16 v24, v43, 0x3b9c, v19
	v_fmac_f16_e32 v19, 0xbb9c, v43
	v_add_f16_e32 v31, v25, v31
	v_fma_f16 v8, -0.5, v40, v7
	v_fmac_f16_e32 v7, -0.5, v48
	v_fma_f16 v25, -0.5, v52, v18
	v_fmac_f16_e32 v18, -0.5, v57
	v_fmac_f16_e32 v20, 0x3b9c, v13
	v_sub_f16_e32 v50, v32, v33
	v_sub_f16_e32 v56, v39, v37
	v_add_f16_e32 v40, v46, v47
	v_add_f16_e32 v30, v51, v30
	;; [unrolled: 1-line block ×3, first 2 shown]
	v_fmac_f16_e32 v6, 0x38b4, v17
	v_fmac_f16_e32 v11, 0xb8b4, v17
	;; [unrolled: 1-line block ×4, first 2 shown]
	v_add_f16_e32 v17, v27, v42
	v_fmac_f16_e32 v22, 0xb8b4, v43
	v_fmac_f16_e32 v24, 0xb8b4, v13
	;; [unrolled: 1-line block ×3, first 2 shown]
	v_fmamk_f16 v13, v44, 0x3b9c, v8
	v_fmac_f16_e32 v8, 0xbb9c, v44
	v_fmamk_f16 v14, v45, 0xbb9c, v7
	v_fmac_f16_e32 v7, 0x3b9c, v45
	;; [unrolled: 2-line block ×4, first 2 shown]
	v_fmac_f16_e32 v20, 0x38b4, v43
	v_add_f16_e32 v41, v49, v50
	v_add_f16_e32 v46, v55, v56
	;; [unrolled: 1-line block ×5, first 2 shown]
	v_fmac_f16_e32 v6, 0x34f2, v12
	v_fmac_f16_e32 v22, 0x34f2, v36
	;; [unrolled: 1-line block ×16, first 2 shown]
	v_add_f16_e32 v12, v28, v33
	v_add_f16_e32 v30, v30, v39
	v_pack_b32_f16 v28, v5, v17
	v_fmac_f16_e32 v13, 0x34f2, v40
	v_fmac_f16_e32 v8, 0x34f2, v40
	;; [unrolled: 1-line block ×7, first 2 shown]
	v_pack_b32_f16 v31, v6, v22
	v_fmac_f16_e32 v18, 0x34f2, v47
	v_pack_b32_f16 v32, v9, v24
	v_pack_b32_f16 v33, v10, v19
	;; [unrolled: 1-line block ×3, first 2 shown]
	ds_store_2addr_b32 v35, v28, v31 offset1:3
	ds_store_2addr_b32 v35, v32, v33 offset0:6 offset1:9
	ds_store_b32 v35, v34 offset:48
	s_and_saveexec_b32 s1, s0
	s_cbranch_execz .LBB0_17
; %bb.16:
	v_mul_lo_u16 v23, v23, 15
	v_lshlrev_b32_e32 v26, 2, v26
	v_perm_b32 v28, v30, v12, 0x5040100
	v_perm_b32 v31, v27, v13, 0x5040100
	;; [unrolled: 1-line block ×3, first 2 shown]
	v_and_b32_e32 v23, 0xffff, v23
	v_perm_b32 v33, v25, v8, 0x5040100
	s_delay_alu instid0(VALU_DEP_2) | instskip(NEXT) | instid1(VALU_DEP_1)
	v_lshlrev_b32_e32 v23, 2, v23
	v_add3_u32 v23, 0, v26, v23
	v_perm_b32 v26, v18, v7, 0x5040100
	ds_store_2addr_b32 v23, v28, v31 offset1:3
	ds_store_2addr_b32 v23, v32, v26 offset0:6 offset1:9
	ds_store_b32 v23, v33 offset:48
.LBB0_17:
	s_wait_alu 0xfffe
	s_or_b32 exec_lo, exec_lo, s1
	v_cmp_gt_u32_e64 s0, 0x87, v15
	global_wb scope:SCOPE_SE
	s_wait_dscnt 0x0
	s_barrier_signal -1
	s_barrier_wait -1
	global_inv scope:SCOPE_SE
                                        ; implicit-def: $vgpr34
                                        ; implicit-def: $vgpr33
	s_and_saveexec_b32 s1, s0
	s_cbranch_execz .LBB0_19
; %bb.18:
	v_add_nc_u32_e32 v7, 0x1000, v0
	v_add_nc_u32_e32 v9, 0x400, v0
	;; [unrolled: 1-line block ×4, first 2 shown]
	ds_load_2addr_b32 v[5:6], v0 offset1:135
	ds_load_b32 v33, v0 offset:5400
	ds_load_2addr_b32 v[7:8], v7 offset0:56 offset1:191
	ds_load_2addr_b32 v[9:10], v9 offset0:14 offset1:149
	;; [unrolled: 1-line block ×4, first 2 shown]
	s_wait_dscnt 0x5
	v_lshrrev_b32_e32 v17, 16, v5
	s_wait_dscnt 0x4
	v_lshrrev_b32_e32 v34, 16, v33
	v_lshrrev_b32_e32 v22, 16, v6
	s_wait_dscnt 0x3
	v_lshrrev_b32_e32 v18, 16, v7
	;; [unrolled: 3-line block ×5, first 2 shown]
	v_lshrrev_b32_e32 v29, 16, v14
.LBB0_19:
	s_wait_alu 0xfffe
	s_or_b32 exec_lo, exec_lo, s1
	global_wb scope:SCOPE_SE
	s_barrier_signal -1
	s_barrier_wait -1
	global_inv scope:SCOPE_SE
	s_and_saveexec_b32 s1, s0
	s_cbranch_execz .LBB0_21
; %bb.20:
	v_mul_lo_u16 v21, 0x89, v21
	s_delay_alu instid0(VALU_DEP_1) | instskip(NEXT) | instid1(VALU_DEP_1)
	v_lshrrev_b16 v21, 11, v21
	v_mul_lo_u16 v23, v21, 15
	v_and_b32_e32 v21, 0xffff, v21
	s_delay_alu instid0(VALU_DEP_2) | instskip(NEXT) | instid1(VALU_DEP_2)
	v_sub_nc_u16 v23, v15, v23
	v_mul_u32_u24_e32 v21, 0x294, v21
	s_delay_alu instid0(VALU_DEP_2) | instskip(NEXT) | instid1(VALU_DEP_1)
	v_and_b32_e32 v23, 0xff, v23
	v_mul_u32_u24_e32 v26, 10, v23
	v_lshlrev_b32_e32 v23, 2, v23
	s_delay_alu instid0(VALU_DEP_2) | instskip(NEXT) | instid1(VALU_DEP_2)
	v_lshlrev_b32_e32 v26, 2, v26
	v_add3_u32 v21, 0, v21, v23
	s_clause 0x2
	global_load_b128 v[36:39], v26, s[8:9] offset:48
	global_load_b128 v[40:43], v26, s[8:9] offset:64
	global_load_b64 v[44:45], v26, s[8:9] offset:80
	s_wait_loadcnt 0x2
	v_lshrrev_b32_e32 v26, 16, v36
	v_lshrrev_b32_e32 v28, 16, v37
	;; [unrolled: 1-line block ×4, first 2 shown]
	s_wait_loadcnt 0x1
	v_lshrrev_b32_e32 v46, 16, v41
	v_lshrrev_b32_e32 v47, 16, v42
	;; [unrolled: 1-line block ×3, first 2 shown]
	s_wait_loadcnt 0x0
	v_lshrrev_b32_e32 v49, 16, v44
	v_mul_f16_e32 v50, v22, v26
	v_mul_f16_e32 v52, v6, v26
	v_lshrrev_b32_e32 v23, 16, v45
	v_mul_f16_e32 v53, v24, v28
	v_mul_f16_e32 v54, v25, v49
	;; [unrolled: 1-line block ×14, first 2 shown]
	v_fma_f16 v46, v6, v36, -v50
	v_fmac_f16_e32 v52, v22, v36
	v_lshrrev_b32_e32 v35, 16, v40
	v_mul_f16_e32 v51, v34, v23
	v_mul_f16_e32 v23, v33, v23
	v_fma_f16 v22, v9, v37, -v53
	v_fma_f16 v8, v8, v44, -v54
	v_fmac_f16_e32 v49, v24, v37
	v_fma_f16 v24, v10, v38, -v55
	v_fma_f16 v9, v14, v42, -v58
	v_fmac_f16_e32 v31, v29, v42
	v_fma_f16 v10, v13, v41, -v60
	v_fmac_f16_e32 v32, v27, v41
	v_add_f16_e32 v41, v5, v46
	v_add_f16_e32 v42, v17, v52
	v_mul_f16_e32 v59, v30, v35
	v_mul_f16_e32 v35, v12, v35
	v_fma_f16 v6, v33, v45, -v51
	v_fmac_f16_e32 v23, v34, v45
	v_fmac_f16_e32 v28, v18, v43
	;; [unrolled: 1-line block ×3, first 2 shown]
	v_sub_f16_e32 v18, v22, v8
	v_add_f16_e32 v37, v22, v8
	v_add_f16_e32 v22, v41, v22
	;; [unrolled: 1-line block ×3, first 2 shown]
	v_fmac_f16_e32 v26, v25, v44
	v_fma_f16 v7, v7, v43, -v56
	v_fma_f16 v11, v11, v39, -v57
	v_fmac_f16_e32 v47, v20, v39
	v_fma_f16 v12, v12, v40, -v59
	v_fmac_f16_e32 v35, v30, v40
	v_sub_f16_e32 v13, v46, v6
	v_sub_f16_e32 v36, v52, v23
	v_add_f16_e32 v22, v22, v24
	v_add_f16_e32 v41, v41, v48
	;; [unrolled: 1-line block ×3, first 2 shown]
	v_sub_f16_e32 v20, v24, v7
	v_sub_f16_e32 v27, v11, v9
	;; [unrolled: 1-line block ×3, first 2 shown]
	v_add_f16_e32 v34, v46, v6
	v_sub_f16_e32 v38, v49, v26
	v_sub_f16_e32 v40, v48, v28
	;; [unrolled: 1-line block ×4, first 2 shown]
	v_mul_f16_e32 v50, 0xb482, v13
	v_mul_f16_e32 v55, 0xb482, v36
	;; [unrolled: 1-line block ×10, first 2 shown]
	v_add_f16_e32 v44, v11, v9
	v_add_f16_e32 v11, v22, v11
	;; [unrolled: 1-line block ×9, first 2 shown]
	v_mul_f16_e32 v51, 0x3853, v18
	v_mul_f16_e32 v52, 0xba0c, v20
	;; [unrolled: 1-line block ×40, first 2 shown]
	v_fmamk_f16 v88, v14, 0xbbad, v50
	v_fma_f16 v93, v34, 0xbbad, -v55
	v_fmamk_f16 v95, v14, 0xb93d, v57
	v_fma_f16 v100, v34, 0xb93d, -v62
	;; [unrolled: 2-line block ×4, first 2 shown]
	v_fma_f16 v112, v34, 0x3abb, -v36
	v_fmac_f16_e32 v55, 0xbbad, v34
	v_fmac_f16_e32 v62, 0xb93d, v34
	;; [unrolled: 1-line block ×5, first 2 shown]
	v_fmamk_f16 v48, v14, 0x3abb, v13
	v_fma_f16 v50, v14, 0xbbad, -v50
	v_fma_f16 v57, v14, 0xb93d, -v57
	;; [unrolled: 1-line block ×4, first 2 shown]
	v_add_f16_e32 v11, v11, v12
	v_add_f16_e32 v12, v22, v35
	v_fmamk_f16 v89, v19, 0x3abb, v51
	v_fmamk_f16 v90, v25, 0xb93d, v52
	v_fmamk_f16 v91, v29, 0x36a6, v53
	v_fmamk_f16 v92, v33, 0xb08e, v54
	v_fma_f16 v94, v37, 0x3abb, -v56
	v_fmamk_f16 v96, v19, 0xb08e, v58
	v_fmamk_f16 v97, v25, 0x3abb, v59
	v_fmamk_f16 v98, v29, 0xbbad, v60
	v_fmamk_f16 v99, v33, 0x36a6, v61
	v_fma_f16 v101, v37, 0xb08e, -v63
	;; [unrolled: 5-line block ×4, first 2 shown]
	v_fma_f16 v13, v14, 0x3abb, -v13
	v_fmamk_f16 v14, v19, 0x36a6, v18
	v_fma_f16 v51, v19, 0x3abb, -v51
	v_fma_f16 v58, v19, 0xb08e, -v58
	v_fma_f16 v65, v19, 0xbbad, -v65
	v_fma_f16 v72, v19, 0xb93d, -v72
	v_fma_f16 v18, v19, 0x36a6, -v18
	v_fmamk_f16 v19, v25, 0xb08e, v20
	v_fma_f16 v52, v25, 0xb93d, -v52
	v_fma_f16 v59, v25, 0x3abb, -v59
	v_fma_f16 v66, v25, 0x36a6, -v66
	v_fma_f16 v73, v25, 0xbbad, -v73
	;; [unrolled: 6-line block ×4, first 2 shown]
	v_fma_f16 v30, v33, 0xbbad, -v30
	v_fma_f16 v33, v37, 0x36a6, -v38
	v_fmac_f16_e32 v56, 0x3abb, v37
	v_fmac_f16_e32 v63, 0xb08e, v37
	v_fmac_f16_e32 v70, 0xbbad, v37
	v_fmac_f16_e32 v77, 0xb93d, v37
	v_fmac_f16_e32 v38, 0x36a6, v37
	v_fma_f16 v37, v39, 0xb93d, -v42
	v_fmac_f16_e32 v42, 0xb93d, v39
	v_fma_f16 v115, v39, 0x3abb, -v49
	v_fmac_f16_e32 v49, 0x3abb, v39
	;; [unrolled: 2-line block ×15, first 2 shown]
	v_add_f16_e32 v46, v5, v93
	v_add_f16_e32 v93, v5, v100
	;; [unrolled: 1-line block ×110, first 2 shown]
	v_pack_b32_f16 v9, v19, v14
	v_pack_b32_f16 v14, v24, v34
	;; [unrolled: 1-line block ×11, first 2 shown]
	ds_store_2addr_b32 v21, v14, v19 offset0:30 offset1:45
	ds_store_2addr_b32 v21, v20, v17 offset0:60 offset1:75
	;; [unrolled: 1-line block ×4, first 2 shown]
	ds_store_2addr_b32 v21, v6, v9 offset1:15
	ds_store_b32 v21, v5 offset:600
.LBB0_21:
	s_wait_alu 0xfffe
	s_or_b32 exec_lo, exec_lo, s1
	v_dual_mov_b32 v6, 0 :: v_dual_lshlrev_b32 v5, 1, v15
	v_add_nc_u32_e32 v13, 0x14a, v15
	global_wb scope:SCOPE_SE
	s_wait_dscnt 0x0
	s_barrier_signal -1
	s_barrier_wait -1
	v_lshlrev_b64_e32 v[7:8], 2, v[5:6]
	v_and_b32_e32 v5, 0xffff, v13
	global_inv scope:SCOPE_SE
	v_lshl_add_u32 v11, v15, 2, 0
	v_add_nc_u32_e32 v12, 0xc00, v0
	v_add_nc_u32_e32 v10, 0x1200, v0
	v_mul_u32_u24_e32 v5, 0x8d31, v5
	v_add_co_u32 v7, s0, s8, v7
	s_wait_alu 0xf1ff
	v_add_co_ci_u32_e64 v8, s0, s9, v8, s0
	s_delay_alu instid0(VALU_DEP_3)
	v_lshrrev_b32_e32 v5, 16, v5
	v_add_nc_u32_e32 v11, 0x200, v11
	v_add_nc_u32_e32 v29, 0x400, v0
	global_load_b64 v[17:18], v[7:8], off offset:648
	v_add_nc_u32_e32 v30, 0xa00, v0
	v_sub_nc_u16 v9, v13, v5
	s_delay_alu instid0(VALU_DEP_1) | instskip(NEXT) | instid1(VALU_DEP_1)
	v_lshrrev_b16 v9, 1, v9
	v_add_nc_u16 v5, v9, v5
	s_delay_alu instid0(VALU_DEP_1) | instskip(NEXT) | instid1(VALU_DEP_1)
	v_lshrrev_b16 v5, 7, v5
	v_mul_lo_u16 v5, 0xa5, v5
	s_delay_alu instid0(VALU_DEP_1) | instskip(NEXT) | instid1(VALU_DEP_1)
	v_sub_nc_u16 v5, v13, v5
	v_and_b32_e32 v5, 0xffff, v5
	s_delay_alu instid0(VALU_DEP_1)
	v_lshlrev_b32_e32 v9, 3, v5
	v_lshl_add_u32 v5, v5, 2, 0
	global_load_b64 v[19:20], v9, s[8:9] offset:648
	v_add_nc_u32_e32 v9, 0x700, v0
	ds_load_b32 v14, v0
	ds_load_2addr_b32 v[21:22], v9 offset0:47 offset1:212
	ds_load_2addr_b32 v[23:24], v10 offset0:3 offset1:168
	;; [unrolled: 1-line block ×4, first 2 shown]
	v_add_nc_u32_e32 v42, 0xf00, v5
	global_wb scope:SCOPE_SE
	s_wait_loadcnt_dscnt 0x0
	s_barrier_signal -1
	s_barrier_wait -1
	global_inv scope:SCOPE_SE
	v_lshrrev_b32_e32 v31, 16, v14
	v_lshrrev_b32_e32 v33, 16, v21
	;; [unrolled: 1-line block ×11, first 2 shown]
	s_delay_alu instid0(VALU_DEP_2) | instskip(SKIP_1) | instid1(VALU_DEP_3)
	v_mul_f16_e32 v43, v40, v33
	v_mul_f16_e32 v44, v40, v21
	;; [unrolled: 1-line block ×8, first 2 shown]
	v_fma_f16 v21, v17, v21, -v43
	v_fmac_f16_e32 v44, v17, v33
	v_fma_f16 v26, v18, v26, -v45
	v_fmac_f16_e32 v46, v18, v34
	;; [unrolled: 2-line block ×3, first 2 shown]
	v_fmac_f16_e32 v41, v18, v36
	v_fma_f16 v17, v18, v23, -v48
	v_add_f16_e32 v18, v14, v21
	v_add_f16_e32 v23, v21, v26
	v_sub_f16_e32 v33, v44, v46
	v_add_f16_e32 v34, v31, v44
	v_add_f16_e32 v35, v44, v46
	v_add_f16_e32 v36, v27, v22
	v_sub_f16_e32 v44, v40, v41
	v_add_f16_e32 v45, v38, v40
	;; [unrolled: 4-line block ×3, first 2 shown]
	v_fmac_f16_e32 v14, -0.5, v23
	v_add_f16_e32 v23, v34, v46
	v_fmac_f16_e32 v31, -0.5, v35
	v_add_f16_e32 v17, v36, v17
	v_fmac_f16_e32 v38, -0.5, v40
	v_sub_f16_e32 v21, v21, v26
	v_pack_b32_f16 v18, v18, v23
	v_fma_f16 v26, -0.5, v43, v27
	v_add_f16_e32 v27, v45, v41
	v_lshrrev_b32_e32 v35, 16, v19
	v_lshrrev_b32_e32 v36, 16, v20
	v_fmamk_f16 v40, v22, 0xbaee, v38
	v_fmac_f16_e32 v38, 0x3aee, v22
	v_fmamk_f16 v34, v33, 0x3aee, v14
	v_mul_f16_e32 v22, v35, v37
	v_mul_f16_e32 v23, v32, v36
	;; [unrolled: 1-line block ×4, first 2 shown]
	v_fmac_f16_e32 v14, 0xbaee, v33
	v_fma_f16 v22, v19, v25, -v22
	v_fma_f16 v23, v24, v20, -v23
	v_fmac_f16_e32 v35, v19, v37
	v_fmac_f16_e32 v36, v32, v20
	v_fmamk_f16 v33, v21, 0xbaee, v31
	v_fmac_f16_e32 v31, 0x3aee, v21
	v_add_f16_e32 v20, v22, v23
	v_pack_b32_f16 v17, v17, v27
	v_add_f16_e32 v25, v35, v36
	v_add_f16_e32 v24, v28, v22
	v_pack_b32_f16 v14, v14, v31
	v_sub_f16_e32 v27, v35, v36
	v_add_f16_e32 v31, v39, v35
	v_fmac_f16_e32 v28, -0.5, v20
	v_sub_f16_e32 v20, v22, v23
	v_fmac_f16_e32 v39, -0.5, v25
	v_fmamk_f16 v21, v44, 0x3aee, v26
	v_fmac_f16_e32 v26, 0xbaee, v44
	v_add_f16_e32 v22, v24, v23
	v_add_f16_e32 v23, v31, v36
	v_fmamk_f16 v24, v27, 0x3aee, v28
	v_fmamk_f16 v25, v20, 0xbaee, v39
	v_fmac_f16_e32 v28, 0xbaee, v27
	v_fmac_f16_e32 v39, 0x3aee, v20
	v_pack_b32_f16 v19, v34, v33
	v_pack_b32_f16 v20, v21, v40
	;; [unrolled: 1-line block ×6, first 2 shown]
	ds_store_2addr_b32 v0, v18, v19 offset1:165
	ds_store_2addr_b32 v29, v14, v17 offset0:74 offset1:239
	ds_store_2addr_b32 v30, v20, v21 offset0:20 offset1:185
	;; [unrolled: 1-line block ×3, first 2 shown]
	ds_store_b32 v5, v24 offset:5280
	global_wb scope:SCOPE_SE
	s_wait_dscnt 0x0
	s_barrier_signal -1
	s_barrier_wait -1
	global_inv scope:SCOPE_SE
	s_and_saveexec_b32 s0, vcc_lo
	s_cbranch_execz .LBB0_23
; %bb.22:
	v_lshlrev_b32_e32 v5, 1, v13
	v_add_nc_u32_e32 v27, 0x14a, v15
	v_mul_lo_u32 v24, s2, v4
	v_add_nc_u32_e32 v26, 0xa5, v15
	s_delay_alu instid0(VALU_DEP_4) | instskip(SKIP_2) | instid1(VALU_DEP_2)
	v_lshlrev_b64_e32 v[13:14], 2, v[5:6]
	v_lshlrev_b32_e32 v5, 1, v16
	v_mul_hi_u32 v25, 0x21195767, v27
	v_lshlrev_b64_e32 v[16:17], 2, v[5:6]
	s_delay_alu instid0(VALU_DEP_4) | instskip(SKIP_3) | instid1(VALU_DEP_4)
	v_add_co_u32 v13, vcc_lo, s8, v13
	s_wait_alu 0xfffd
	v_add_co_ci_u32_e32 v14, vcc_lo, s9, v14, vcc_lo
	v_mul_lo_u32 v5, s3, v3
	v_add_co_u32 v16, vcc_lo, s8, v16
	global_load_b64 v[13:14], v[13:14], off offset:1968
	s_wait_alu 0xfffd
	v_add_co_ci_u32_e32 v17, vcc_lo, s9, v17, vcc_lo
	v_mad_co_u64_u32 v[3:4], null, s2, v3, 0
	s_clause 0x1
	global_load_b64 v[16:17], v[16:17], off offset:1968
	global_load_b64 v[7:8], v[7:8], off offset:1968
	ds_load_2addr_b32 v[18:19], v12 offset0:57 offset1:222
	v_mul_hi_u32 v12, 0x21195767, v15
	ds_load_2addr_b32 v[20:21], v10 offset0:3 offset1:168
	ds_load_2addr_b32 v[10:11], v11 offset0:37 offset1:202
	;; [unrolled: 1-line block ×3, first 2 shown]
	ds_load_b32 v32, v0
	v_add3_u32 v4, v4, v24, v5
	v_lshlrev_b64_e32 v[0:1], 2, v[1:2]
	v_mov_b32_e32 v2, v6
	v_lshrrev_b32_e32 v12, 6, v12
	s_delay_alu instid0(VALU_DEP_4) | instskip(NEXT) | instid1(VALU_DEP_2)
	v_lshlrev_b64_e32 v[3:4], 2, v[3:4]
	v_mul_u32_u24_e32 v5, 0x1ef, v12
	v_lshrrev_b32_e32 v12, 6, v25
	v_mov_b32_e32 v25, v6
	v_mul_hi_u32 v9, 0x21195767, v26
	v_add_co_u32 v3, vcc_lo, s6, v3
	v_sub_nc_u32_e32 v5, v15, v5
	v_mul_u32_u24_e32 v24, 0x1ef, v12
	s_wait_alu 0xfffd
	v_add_co_ci_u32_e32 v4, vcc_lo, s7, v4, vcc_lo
	s_wait_dscnt 0x4
	v_lshrrev_b32_e32 v33, 16, v18
	v_lshrrev_b32_e32 v9, 6, v9
	v_sub_nc_u32_e32 v24, v27, v24
	s_wait_dscnt 0x3
	v_lshrrev_b32_e32 v34, 16, v21
	s_wait_dscnt 0x1
	v_lshrrev_b32_e32 v36, 16, v23
	v_lshrrev_b32_e32 v37, 16, v20
	v_mul_u32_u24_e32 v15, 0x1ef, v9
	v_lshrrev_b32_e32 v39, 16, v22
	v_lshrrev_b32_e32 v40, 16, v19
	;; [unrolled: 1-line block ×4, first 2 shown]
	v_sub_nc_u32_e32 v15, v26, v15
	v_lshlrev_b32_e32 v26, 2, v5
	s_wait_dscnt 0x0
	v_lshrrev_b32_e32 v41, 16, v32
	s_delay_alu instid0(VALU_DEP_3) | instskip(SKIP_3) | instid1(VALU_DEP_3)
	v_mad_u32_u24 v5, 0x5cd, v9, v15
	v_add_co_u32 v9, vcc_lo, v3, v0
	s_wait_alu 0xfffd
	v_add_co_ci_u32_e32 v15, vcc_lo, v4, v1, vcc_lo
	v_lshlrev_b64_e32 v[3:4], 2, v[5:6]
	v_add_nc_u32_e32 v1, 0x1ef, v5
	v_add_nc_u32_e32 v5, 0x3de, v5
	v_add_co_u32 v26, vcc_lo, v9, v26
	s_wait_alu 0xfffd
	v_add_co_ci_u32_e32 v27, vcc_lo, 0, v15, vcc_lo
	s_delay_alu instid0(VALU_DEP_3)
	v_lshlrev_b64_e32 v[28:29], 2, v[5:6]
	v_mad_u32_u24 v5, 0x5cd, v12, v24
	v_lshlrev_b64_e32 v[0:1], 2, v[1:2]
	v_add_co_u32 v2, vcc_lo, v9, v3
	s_wait_alu 0xfffd
	v_add_co_ci_u32_e32 v3, vcc_lo, v15, v4, vcc_lo
	v_add_nc_u32_e32 v24, 0x1ef, v5
	v_lshlrev_b64_e32 v[30:31], 2, v[5:6]
	v_add_co_u32 v0, vcc_lo, v9, v0
	v_add_nc_u32_e32 v5, 0x3de, v5
	s_wait_alu 0xfffd
	v_add_co_ci_u32_e32 v1, vcc_lo, v15, v1, vcc_lo
	v_add_co_u32 v28, vcc_lo, v9, v28
	v_lshlrev_b64_e32 v[24:25], 2, v[24:25]
	s_wait_alu 0xfffd
	v_add_co_ci_u32_e32 v29, vcc_lo, v15, v29, vcc_lo
	v_lshlrev_b64_e32 v[4:5], 2, v[5:6]
	v_add_co_u32 v30, vcc_lo, v9, v30
	s_wait_alu 0xfffd
	v_add_co_ci_u32_e32 v31, vcc_lo, v15, v31, vcc_lo
	v_add_co_u32 v24, vcc_lo, v9, v24
	s_wait_alu 0xfffd
	v_add_co_ci_u32_e32 v25, vcc_lo, v15, v25, vcc_lo
	;; [unrolled: 3-line block ×3, first 2 shown]
	s_wait_loadcnt 0x2
	v_lshrrev_b32_e32 v6, 16, v13
	v_lshrrev_b32_e32 v12, 16, v14
	v_mul_f16_e32 v42, v13, v33
	v_mul_f16_e32 v43, v14, v34
	s_delay_alu instid0(VALU_DEP_4) | instskip(NEXT) | instid1(VALU_DEP_4)
	v_mul_f16_e32 v9, v6, v33
	v_mul_f16_e32 v15, v12, v34
	s_delay_alu instid0(VALU_DEP_4) | instskip(NEXT) | instid1(VALU_DEP_4)
	v_fmac_f16_e32 v42, v6, v18
	v_fmac_f16_e32 v43, v21, v12
	s_wait_loadcnt 0x1
	v_lshrrev_b32_e32 v6, 16, v16
	v_lshrrev_b32_e32 v12, 16, v17
	v_mul_f16_e32 v33, v16, v36
	v_mul_f16_e32 v34, v17, v37
	s_wait_loadcnt 0x0
	v_lshrrev_b32_e32 v44, 16, v7
	v_lshrrev_b32_e32 v45, 16, v8
	v_mul_f16_e32 v46, v7, v39
	v_mul_f16_e32 v47, v8, v40
	v_fma_f16 v9, v13, v18, -v9
	v_fma_f16 v13, v14, v21, -v15
	v_add_f16_e32 v14, v42, v43
	v_mul_f16_e32 v21, v6, v36
	v_mul_f16_e32 v36, v12, v37
	v_fmac_f16_e32 v33, v6, v23
	v_fmac_f16_e32 v34, v12, v20
	v_mul_f16_e32 v6, v44, v39
	v_mul_f16_e32 v12, v45, v40
	v_add_f16_e32 v15, v42, v35
	v_fmac_f16_e32 v46, v44, v22
	v_fmac_f16_e32 v47, v45, v19
	v_sub_f16_e32 v37, v9, v13
	v_fma_f16 v14, -0.5, v14, v35
	v_add_f16_e32 v35, v9, v13
	v_add_f16_e32 v9, v9, v11
	v_fma_f16 v16, v16, v23, -v21
	v_fma_f16 v17, v17, v20, -v36
	v_add_f16_e32 v20, v33, v34
	v_fma_f16 v6, v7, v22, -v6
	v_fma_f16 v7, v8, v19, -v12
	v_add_f16_e32 v23, v33, v38
	v_sub_f16_e32 v18, v42, v43
	v_sub_f16_e32 v21, v33, v34
	v_add_f16_e32 v8, v46, v47
	v_fma_f16 v11, -0.5, v35, v11
	v_add_f16_e32 v9, v13, v9
	v_sub_f16_e32 v13, v16, v17
	v_fma_f16 v20, -0.5, v20, v38
	v_add_f16_e32 v33, v16, v17
	v_add_f16_e32 v16, v16, v10
	;; [unrolled: 1-line block ×5, first 2 shown]
	v_sub_f16_e32 v34, v6, v7
	v_add_f16_e32 v6, v6, v32
	v_add_f16_e32 v15, v43, v15
	v_sub_f16_e32 v12, v46, v47
	v_fma_f16 v8, -0.5, v8, v41
	v_fmamk_f16 v36, v18, 0xbaee, v11
	v_fmac_f16_e32 v11, 0x3aee, v18
	v_fmamk_f16 v18, v13, 0x3aee, v20
	v_fmac_f16_e32 v20, 0xbaee, v13
	v_add_f16_e32 v13, v16, v17
	v_fma_f16 v17, -0.5, v35, v32
	v_fma_f16 v10, -0.5, v33, v10
	v_add_f16_e32 v19, v19, v47
	v_add_f16_e32 v6, v6, v7
	v_fmamk_f16 v16, v34, 0x3aee, v8
	v_fmac_f16_e32 v8, 0xbaee, v34
	v_pack_b32_f16 v7, v9, v15
	v_fmamk_f16 v15, v12, 0xbaee, v17
	v_fmac_f16_e32 v17, 0x3aee, v12
	v_fmamk_f16 v22, v37, 0x3aee, v14
	v_fmac_f16_e32 v14, 0xbaee, v37
	;; [unrolled: 2-line block ×3, first 2 shown]
	v_pack_b32_f16 v6, v6, v19
	v_pack_b32_f16 v8, v17, v8
	;; [unrolled: 1-line block ×8, first 2 shown]
	s_clause 0x8
	global_store_b32 v[26:27], v6, off
	global_store_b32 v[26:27], v8, off offset:1980
	global_store_b32 v[26:27], v14, off offset:3960
	global_store_b32 v[2:3], v12, off
	global_store_b32 v[0:1], v10, off
	;; [unrolled: 1-line block ×6, first 2 shown]
.LBB0_23:
	s_nop 0
	s_sendmsg sendmsg(MSG_DEALLOC_VGPRS)
	s_endpgm
	.section	.rodata,"a",@progbits
	.p2align	6, 0x0
	.amdhsa_kernel fft_rtc_fwd_len1485_factors_3_5_11_3_3_wgs_165_tpt_165_half_op_CI_CI_unitstride_sbrr_dirReg
		.amdhsa_group_segment_fixed_size 0
		.amdhsa_private_segment_fixed_size 0
		.amdhsa_kernarg_size 104
		.amdhsa_user_sgpr_count 2
		.amdhsa_user_sgpr_dispatch_ptr 0
		.amdhsa_user_sgpr_queue_ptr 0
		.amdhsa_user_sgpr_kernarg_segment_ptr 1
		.amdhsa_user_sgpr_dispatch_id 0
		.amdhsa_user_sgpr_private_segment_size 0
		.amdhsa_wavefront_size32 1
		.amdhsa_uses_dynamic_stack 0
		.amdhsa_enable_private_segment 0
		.amdhsa_system_sgpr_workgroup_id_x 1
		.amdhsa_system_sgpr_workgroup_id_y 0
		.amdhsa_system_sgpr_workgroup_id_z 0
		.amdhsa_system_sgpr_workgroup_info 0
		.amdhsa_system_vgpr_workitem_id 0
		.amdhsa_next_free_vgpr 127
		.amdhsa_next_free_sgpr 39
		.amdhsa_reserve_vcc 1
		.amdhsa_float_round_mode_32 0
		.amdhsa_float_round_mode_16_64 0
		.amdhsa_float_denorm_mode_32 3
		.amdhsa_float_denorm_mode_16_64 3
		.amdhsa_fp16_overflow 0
		.amdhsa_workgroup_processor_mode 1
		.amdhsa_memory_ordered 1
		.amdhsa_forward_progress 0
		.amdhsa_round_robin_scheduling 0
		.amdhsa_exception_fp_ieee_invalid_op 0
		.amdhsa_exception_fp_denorm_src 0
		.amdhsa_exception_fp_ieee_div_zero 0
		.amdhsa_exception_fp_ieee_overflow 0
		.amdhsa_exception_fp_ieee_underflow 0
		.amdhsa_exception_fp_ieee_inexact 0
		.amdhsa_exception_int_div_zero 0
	.end_amdhsa_kernel
	.text
.Lfunc_end0:
	.size	fft_rtc_fwd_len1485_factors_3_5_11_3_3_wgs_165_tpt_165_half_op_CI_CI_unitstride_sbrr_dirReg, .Lfunc_end0-fft_rtc_fwd_len1485_factors_3_5_11_3_3_wgs_165_tpt_165_half_op_CI_CI_unitstride_sbrr_dirReg
                                        ; -- End function
	.section	.AMDGPU.csdata,"",@progbits
; Kernel info:
; codeLenInByte = 8320
; NumSgprs: 41
; NumVgprs: 127
; ScratchSize: 0
; MemoryBound: 0
; FloatMode: 240
; IeeeMode: 1
; LDSByteSize: 0 bytes/workgroup (compile time only)
; SGPRBlocks: 5
; VGPRBlocks: 15
; NumSGPRsForWavesPerEU: 41
; NumVGPRsForWavesPerEU: 127
; Occupancy: 10
; WaveLimiterHint : 1
; COMPUTE_PGM_RSRC2:SCRATCH_EN: 0
; COMPUTE_PGM_RSRC2:USER_SGPR: 2
; COMPUTE_PGM_RSRC2:TRAP_HANDLER: 0
; COMPUTE_PGM_RSRC2:TGID_X_EN: 1
; COMPUTE_PGM_RSRC2:TGID_Y_EN: 0
; COMPUTE_PGM_RSRC2:TGID_Z_EN: 0
; COMPUTE_PGM_RSRC2:TIDIG_COMP_CNT: 0
	.text
	.p2alignl 7, 3214868480
	.fill 96, 4, 3214868480
	.type	__hip_cuid_6c9a39995c3fc7e3,@object ; @__hip_cuid_6c9a39995c3fc7e3
	.section	.bss,"aw",@nobits
	.globl	__hip_cuid_6c9a39995c3fc7e3
__hip_cuid_6c9a39995c3fc7e3:
	.byte	0                               ; 0x0
	.size	__hip_cuid_6c9a39995c3fc7e3, 1

	.ident	"AMD clang version 19.0.0git (https://github.com/RadeonOpenCompute/llvm-project roc-6.4.0 25133 c7fe45cf4b819c5991fe208aaa96edf142730f1d)"
	.section	".note.GNU-stack","",@progbits
	.addrsig
	.addrsig_sym __hip_cuid_6c9a39995c3fc7e3
	.amdgpu_metadata
---
amdhsa.kernels:
  - .args:
      - .actual_access:  read_only
        .address_space:  global
        .offset:         0
        .size:           8
        .value_kind:     global_buffer
      - .offset:         8
        .size:           8
        .value_kind:     by_value
      - .actual_access:  read_only
        .address_space:  global
        .offset:         16
        .size:           8
        .value_kind:     global_buffer
      - .actual_access:  read_only
        .address_space:  global
        .offset:         24
        .size:           8
        .value_kind:     global_buffer
      - .actual_access:  read_only
        .address_space:  global
        .offset:         32
        .size:           8
        .value_kind:     global_buffer
      - .offset:         40
        .size:           8
        .value_kind:     by_value
      - .actual_access:  read_only
        .address_space:  global
        .offset:         48
        .size:           8
        .value_kind:     global_buffer
      - .actual_access:  read_only
        .address_space:  global
        .offset:         56
        .size:           8
        .value_kind:     global_buffer
      - .offset:         64
        .size:           4
        .value_kind:     by_value
      - .actual_access:  read_only
        .address_space:  global
        .offset:         72
        .size:           8
        .value_kind:     global_buffer
      - .actual_access:  read_only
        .address_space:  global
        .offset:         80
        .size:           8
        .value_kind:     global_buffer
      - .actual_access:  read_only
        .address_space:  global
        .offset:         88
        .size:           8
        .value_kind:     global_buffer
      - .actual_access:  write_only
        .address_space:  global
        .offset:         96
        .size:           8
        .value_kind:     global_buffer
    .group_segment_fixed_size: 0
    .kernarg_segment_align: 8
    .kernarg_segment_size: 104
    .language:       OpenCL C
    .language_version:
      - 2
      - 0
    .max_flat_workgroup_size: 165
    .name:           fft_rtc_fwd_len1485_factors_3_5_11_3_3_wgs_165_tpt_165_half_op_CI_CI_unitstride_sbrr_dirReg
    .private_segment_fixed_size: 0
    .sgpr_count:     41
    .sgpr_spill_count: 0
    .symbol:         fft_rtc_fwd_len1485_factors_3_5_11_3_3_wgs_165_tpt_165_half_op_CI_CI_unitstride_sbrr_dirReg.kd
    .uniform_work_group_size: 1
    .uses_dynamic_stack: false
    .vgpr_count:     127
    .vgpr_spill_count: 0
    .wavefront_size: 32
    .workgroup_processor_mode: 1
amdhsa.target:   amdgcn-amd-amdhsa--gfx1201
amdhsa.version:
  - 1
  - 2
...

	.end_amdgpu_metadata
